;; amdgpu-corpus repo=ROCm/rocFFT kind=compiled arch=gfx1030 opt=O3
	.text
	.amdgcn_target "amdgcn-amd-amdhsa--gfx1030"
	.amdhsa_code_object_version 6
	.protected	fft_rtc_back_len100_factors_5_5_4_wgs_100_tpt_25_half_op_CI_CI_sbrc_z_xy_unaligned ; -- Begin function fft_rtc_back_len100_factors_5_5_4_wgs_100_tpt_25_half_op_CI_CI_sbrc_z_xy_unaligned
	.globl	fft_rtc_back_len100_factors_5_5_4_wgs_100_tpt_25_half_op_CI_CI_sbrc_z_xy_unaligned
	.p2align	8
	.type	fft_rtc_back_len100_factors_5_5_4_wgs_100_tpt_25_half_op_CI_CI_sbrc_z_xy_unaligned,@function
fft_rtc_back_len100_factors_5_5_4_wgs_100_tpt_25_half_op_CI_CI_sbrc_z_xy_unaligned: ; @fft_rtc_back_len100_factors_5_5_4_wgs_100_tpt_25_half_op_CI_CI_sbrc_z_xy_unaligned
; %bb.0:
	s_load_dwordx8 s[8:15], s[4:5], 0x8
	s_waitcnt lgkmcnt(0)
	s_load_dwordx4 s[0:3], s[10:11], 0x8
	s_load_dword s20, s[12:13], 0x10
	s_waitcnt lgkmcnt(0)
	s_add_i32 s1, s0, -1
	s_lshr_b32 s3, s1, 2
	s_add_i32 s7, s3, 1
	s_mul_i32 s2, s7, s2
	v_cvt_f32_u32_e32 v2, s7
	v_cvt_f32_u32_e32 v1, s2
	s_sub_i32 s10, 0, s2
	v_rcp_iflag_f32_e32 v2, v2
	v_rcp_iflag_f32_e32 v1, v1
	v_mul_f32_e32 v1, 0x4f7ffffe, v1
	v_cvt_u32_f32_e32 v1, v1
	v_readfirstlane_b32 s1, v1
	v_mul_f32_e32 v1, 0x4f7ffffe, v2
	s_mul_i32 s10, s10, s1
	v_cvt_u32_f32_e32 v1, v1
	s_mul_hi_u32 s10, s1, s10
	s_add_i32 s1, s1, s10
	s_mul_hi_u32 s1, s6, s1
	v_readfirstlane_b32 s17, v1
	s_mul_i32 s10, s1, s2
	s_add_i32 s11, s1, 1
	s_sub_i32 s10, s6, s10
	v_mul_u32_u24_e32 v1, 0x290, v0
	s_sub_i32 s16, s10, s2
	s_cmp_ge_u32 s10, s2
	s_cselect_b32 s1, s11, s1
	s_cselect_b32 s10, s16, s10
	s_add_i32 s11, s1, 1
	s_cmp_ge_u32 s10, s2
	v_lshrrev_b32_e32 v3, 16, v1
	s_cselect_b32 s1, s11, s1
	s_not_b32 s3, s3
	s_mul_i32 s2, s1, s2
	s_mul_i32 s3, s3, s17
	s_sub_i32 s2, s6, s2
	s_mul_hi_u32 s3, s17, s3
	v_mul_lo_u16 v1, 0x64, v3
	s_add_i32 s3, s17, s3
	s_load_dwordx4 s[16:19], s[12:13], 0x0
	s_mul_hi_u32 s10, s2, s3
	s_mul_hi_u32 s3, s6, s3
	s_mul_i32 s11, s10, s7
	s_mul_i32 s3, s3, s7
	s_sub_i32 s2, s2, s11
	s_add_i32 s11, s10, 1
	s_waitcnt lgkmcnt(0)
	s_sub_i32 s19, s2, s7
	s_cmp_ge_u32 s2, s7
	v_sub_nc_u16 v1, v0, v1
	s_cselect_b32 s10, s11, s10
	s_cselect_b32 s2, s19, s2
	s_add_i32 s11, s10, 1
	s_cmp_ge_u32 s2, s7
	v_and_b32_e32 v4, 0xffff, v1
	s_cselect_b32 s19, s11, s10
	s_sub_i32 s2, s6, s3
	s_sub_i32 s3, s2, s7
	s_cmp_ge_u32 s2, s7
	s_cselect_b32 s2, s3, s2
	s_sub_i32 s3, s2, s7
	s_cmp_ge_u32 s2, s7
	s_cselect_b32 s2, s3, s2
	s_lshl_b64 s[6:7], s[8:9], 3
	s_lshl_b32 s22, s2, 2
	s_mul_i32 s2, s19, s20
	s_mul_i32 s3, s22, s18
	s_add_i32 s10, s3, s2
	s_add_u32 s2, s12, s6
	s_addc_u32 s3, s13, s7
	s_load_dwordx2 s[8:9], s[2:3], 0x0
	s_load_dwordx2 s[12:13], s[4:5], 0x58
	;; [unrolled: 1-line block ×3, first 2 shown]
	s_waitcnt lgkmcnt(0)
	s_mul_i32 s3, s9, s1
	s_mul_hi_u32 s9, s8, s1
	s_mul_i32 s8, s8, s1
	s_add_i32 s9, s9, s3
	s_add_u32 s20, s8, s10
	s_addc_u32 s21, s9, 0
	s_add_u32 s6, s14, s6
	s_addc_u32 s7, s15, s7
	s_clause 0x1
	s_load_dwordx4 s[8:11], s[14:15], 0x0
	s_load_dwordx2 s[6:7], s[6:7], 0x0
	s_add_i32 s3, s22, 4
	s_waitcnt lgkmcnt(0)
	s_mov_b32 s11, -1
	s_cmp_le_u32 s3, s0
	s_cselect_b32 s3, -1, 0
	s_and_b32 vcc_lo, exec_lo, s3
	s_cbranch_vccnz .LBB0_5
; %bb.1:
	v_add_nc_u32_e32 v5, s22, v3
	s_mov_b32 s11, exec_lo
	v_cmpx_gt_u32_e64 s0, v5
	s_cbranch_execz .LBB0_4
; %bb.2:
	v_mad_u64_u32 v[1:2], null, s16, v4, 0
	s_lshl_b64 s[14:15], s[20:21], 2
	v_lshlrev_b32_e32 v9, 2, v4
	s_add_u32 s14, s12, s14
	s_addc_u32 s15, s13, s15
	v_mad_u64_u32 v[6:7], null, s17, v4, v[2:3]
	v_mov_b32_e32 v2, v6
	v_mul_u32_u24_e32 v6, 0x190, v3
	v_lshlrev_b64 v[7:8], 2, v[1:2]
	v_mul_lo_u32 v1, v3, s18
	v_add3_u32 v6, v6, v9, 0
	v_mov_b32_e32 v2, 0
	v_add_co_u32 v7, vcc_lo, s14, v7
	v_add_co_ci_u32_e32 v8, vcc_lo, s15, v8, vcc_lo
	s_mov_b32 s14, 0
	.p2align	6
.LBB0_3:                                ; =>This Inner Loop Header: Depth=1
	v_lshlrev_b64 v[9:10], 2, v[1:2]
	v_add_nc_u32_e32 v5, 1, v5
	v_add_nc_u32_e32 v1, s18, v1
	v_add_co_u32 v9, vcc_lo, v7, v9
	v_add_co_ci_u32_e32 v10, vcc_lo, v8, v10, vcc_lo
	v_cmp_le_u32_e32 vcc_lo, s0, v5
	global_load_dword v9, v[9:10], off
	s_or_b32 s14, vcc_lo, s14
	s_waitcnt vmcnt(0)
	ds_write_b32 v6, v9
	v_add_nc_u32_e32 v6, 0x190, v6
	s_andn2_b32 exec_lo, exec_lo, s14
	s_cbranch_execnz .LBB0_3
.LBB0_4:
	s_or_b32 exec_lo, exec_lo, s11
	s_mov_b32 s11, 0
.LBB0_5:
	s_andn2_b32 vcc_lo, exec_lo, s11
	s_cbranch_vccnz .LBB0_7
; %bb.6:
	v_mad_u64_u32 v[1:2], null, s16, v4, 0
	v_mul_lo_u32 v5, s18, v3
	v_mov_b32_e32 v6, 0
	s_lshl_b64 s[14:15], s[20:21], 2
	s_add_u32 s11, s12, s14
	s_addc_u32 s12, s13, s15
	v_mad_u64_u32 v[7:8], null, s17, v4, v[2:3]
	v_lshlrev_b64 v[8:9], 2, v[5:6]
	v_add_nc_u32_e32 v5, s18, v5
	v_lshlrev_b64 v[10:11], 2, v[5:6]
	v_mov_b32_e32 v2, v7
	v_add_nc_u32_e32 v5, s18, v5
	v_lshlrev_b64 v[1:2], 2, v[1:2]
	v_lshlrev_b64 v[12:13], 2, v[5:6]
	v_add_nc_u32_e32 v5, s18, v5
	v_add_co_u32 v14, vcc_lo, s11, v1
	v_add_co_ci_u32_e32 v15, vcc_lo, s12, v2, vcc_lo
	v_lshlrev_b64 v[1:2], 2, v[5:6]
	v_add_co_u32 v5, vcc_lo, v14, v8
	v_add_co_ci_u32_e32 v6, vcc_lo, v15, v9, vcc_lo
	v_add_co_u32 v7, vcc_lo, v14, v10
	v_add_co_ci_u32_e32 v8, vcc_lo, v15, v11, vcc_lo
	v_add_co_u32 v9, vcc_lo, v14, v12
	v_add_co_ci_u32_e32 v10, vcc_lo, v15, v13, vcc_lo
	v_add_co_u32 v1, vcc_lo, v14, v1
	v_add_co_ci_u32_e32 v2, vcc_lo, v15, v2, vcc_lo
	s_clause 0x3
	global_load_dword v5, v[5:6], off
	global_load_dword v6, v[7:8], off
	;; [unrolled: 1-line block ×4, first 2 shown]
	v_mul_u32_u24_e32 v2, 0x190, v3
	v_lshlrev_b32_e32 v3, 2, v4
	v_add3_u32 v2, 0, v2, v3
	v_add_nc_u32_e32 v3, 0x200, v2
	s_waitcnt vmcnt(2)
	ds_write2_b32 v2, v5, v6 offset1:100
	s_waitcnt vmcnt(0)
	ds_write2_b32 v3, v7, v1 offset0:72 offset1:172
.LBB0_7:
	v_mul_hi_u32 v1, 0xa3d70a4, v0
	v_mov_b32_e32 v2, 0xa3e
	v_mov_b32_e32 v3, 3
	s_waitcnt lgkmcnt(0)
	s_barrier
	buffer_gl0_inv
	v_mul_u32_u24_sdwa v2, v0, v2 dst_sel:DWORD dst_unused:UNUSED_PAD src0_sel:WORD_0 src1_sel:DWORD
	v_mul_u32_u24_e32 v1, 25, v1
	v_and_b32_sdwa v2, v2, v3 dst_sel:DWORD dst_unused:UNUSED_PAD src0_sel:WORD_1 src1_sel:DWORD
	v_sub_nc_u32_e32 v6, v0, v1
	v_mov_b32_e32 v1, 2
	v_mul_lo_u16 v8, 0x64, v2
	v_lshlrev_b32_e32 v2, 2, v6
	v_cmp_gt_u32_e32 vcc_lo, 20, v6
	v_lshlrev_b32_sdwa v3, v1, v8 dst_sel:DWORD dst_unused:UNUSED_PAD src0_sel:DWORD src1_sel:WORD_0
	v_add_nc_u32_e32 v12, 0, v2
	v_add3_u32 v7, 0, v3, v2
	v_add_nc_u32_e32 v5, v12, v3
	ds_read_b32 v4, v7
	ds_read2_b32 v[1:2], v5 offset0:20 offset1:40
	ds_read2_b32 v[9:10], v5 offset0:60 offset1:80
	s_waitcnt lgkmcnt(0)
	s_barrier
	buffer_gl0_inv
	v_pk_add_f16 v11, v4, v1
	v_pk_add_f16 v13, v1, v10 neg_lo:[0,1] neg_hi:[0,1]
	v_pk_add_f16 v15, v1, v10
	v_pk_add_f16 v16, v2, v1 neg_lo:[0,1] neg_hi:[0,1]
	v_pk_add_f16 v17, v9, v10 neg_lo:[0,1] neg_hi:[0,1]
	v_pk_add_f16 v18, v2, v9
	v_pk_add_f16 v1, v1, v2 neg_lo:[0,1] neg_hi:[0,1]
	v_pk_add_f16 v19, v10, v9 neg_lo:[0,1] neg_hi:[0,1]
	;; [unrolled: 1-line block ×3, first 2 shown]
	v_pk_add_f16 v2, v11, v2
	v_pk_fma_f16 v11, v15, 0.5, v4 op_sel_hi:[1,0,1] neg_lo:[1,0,0] neg_hi:[1,0,0]
	v_pk_add_f16 v15, v16, v17
	v_pk_fma_f16 v4, v18, 0.5, v4 op_sel_hi:[1,0,1] neg_lo:[1,0,0] neg_hi:[1,0,0]
	v_pk_add_f16 v16, v1, v19
	v_pk_mul_f16 v1, 0x3b9c, v13 op_sel_hi:[0,1]
	v_pk_mul_f16 v17, 0x38b4, v14 op_sel_hi:[0,1]
	v_pk_add_f16 v2, v2, v9
	v_pk_fma_f16 v9, 0x3b9c, v14, v11 op_sel:[0,0,1] op_sel_hi:[0,1,0]
	v_pk_mul_f16 v15, 0x34f2, v15 op_sel_hi:[0,1]
	v_pk_add_f16 v18, v4, v1 op_sel:[0,1] op_sel_hi:[1,0] neg_lo:[0,1] neg_hi:[0,1]
	v_pk_add_f16 v1, v4, v1 op_sel:[0,1] op_sel_hi:[1,0]
	v_pk_fma_f16 v4, 0x3b9c, v14, v11 op_sel:[0,0,1] op_sel_hi:[0,1,0] neg_lo:[0,1,0] neg_hi:[0,1,0]
	v_pk_fma_f16 v11, 0x38b4, v13, v9 op_sel_hi:[0,1,1] neg_lo:[0,1,0] neg_hi:[0,1,0]
	v_pk_mul_f16 v14, 0x34f2, v16 op_sel_hi:[0,1]
	v_pk_add_f16 v18, v18, v17 op_sel:[0,1] op_sel_hi:[1,0] neg_lo:[0,1] neg_hi:[0,1]
	v_pk_add_f16 v19, v1, v17 op_sel:[0,1] op_sel_hi:[1,0]
	v_pk_add_f16 v9, v2, v10
	v_add_f16_sdwa v2, v17, v1 dst_sel:DWORD dst_unused:UNUSED_PAD src0_sel:DWORD src1_sel:WORD_1
	v_pk_fma_f16 v4, 0x38b4, v13, v4 op_sel_hi:[0,1,1]
	v_pk_add_f16 v11, v15, v11 op_sel:[1,0] op_sel_hi:[0,1]
	v_bfi_b32 v17, 0xffff, v19, v18
	v_add_f16_e32 v1, v14, v18
	v_add_f16_sdwa v10, v14, v2 dst_sel:DWORD dst_unused:UNUSED_PAD src0_sel:WORD_1 src1_sel:DWORD
	v_pk_add_f16 v13, v15, v4 op_sel:[1,0] op_sel_hi:[0,1]
	v_lshrrev_b32_e32 v2, 16, v11
	v_pk_fma_f16 v4, 0x34f2, v16, v17 op_sel_hi:[0,1,1]
	s_and_saveexec_b32 s11, vcc_lo
	s_cbranch_execz .LBB0_9
; %bb.8:
	v_lshlrev_b32_e32 v14, 4, v6
	v_perm_b32 v15, v10, v1, 0x5040100
	v_perm_b32 v16, v13, v2, 0x5040100
	v_add3_u32 v3, v12, v14, v3
	v_alignbit_b32 v12, v11, v13, 16
	ds_write2_b32 v3, v9, v15 offset1:1
	ds_write2_b32 v3, v16, v12 offset0:2 offset1:3
	ds_write_b32 v3, v4 offset:16
.LBB0_9:
	s_or_b32 exec_lo, exec_lo, s11
	s_load_dwordx2 s[12:13], s[4:5], 0x0
	v_lshrrev_b32_e32 v12, 16, v9
	v_lshrrev_b32_e32 v3, 16, v13
	;; [unrolled: 1-line block ×3, first 2 shown]
	s_waitcnt lgkmcnt(0)
	s_barrier
	buffer_gl0_inv
	s_and_saveexec_b32 s11, vcc_lo
	s_cbranch_execz .LBB0_11
; %bb.10:
	ds_read2_b32 v[1:2], v5 offset0:20 offset1:40
	ds_read2_b32 v[3:4], v5 offset0:60 offset1:80
	ds_read_b32 v9, v7
	ds_read_u16 v12, v7 offset:2
	s_waitcnt lgkmcnt(3)
	v_lshrrev_b32_e32 v10, 16, v1
	v_lshrrev_b32_e32 v13, 16, v2
	s_waitcnt lgkmcnt(2)
	v_lshrrev_b32_e32 v11, 16, v3
	v_lshrrev_b32_e32 v14, 16, v4
.LBB0_11:
	s_or_b32 exec_lo, exec_lo, s11
	s_waitcnt lgkmcnt(0)
	s_barrier
	buffer_gl0_inv
	s_and_saveexec_b32 s11, vcc_lo
	s_cbranch_execz .LBB0_13
; %bb.12:
	v_and_b32_e32 v15, 0xff, v6
	v_mov_b32_e32 v21, 2
	v_mul_lo_u16 v15, 0xcd, v15
	v_lshlrev_b32_sdwa v8, v21, v8 dst_sel:DWORD dst_unused:UNUSED_PAD src0_sel:DWORD src1_sel:WORD_0
	v_lshrrev_b16 v19, 10, v15
	v_mul_lo_u16 v15, v19, 5
	v_mul_lo_u16 v19, v19, 25
	v_sub_nc_u16 v15, v6, v15
	v_lshlrev_b32_sdwa v19, v21, v19 dst_sel:DWORD dst_unused:UNUSED_PAD src0_sel:DWORD src1_sel:BYTE_0
	v_and_b32_e32 v20, 0xff, v15
	v_lshlrev_b32_e32 v15, 4, v20
	v_lshl_add_u32 v20, v20, 2, 0
	global_load_dwordx4 v[15:18], v15, s[12:13]
	v_add3_u32 v8, v20, v19, v8
	s_waitcnt vmcnt(0)
	v_mul_f16_sdwa v19, v2, v16 dst_sel:DWORD dst_unused:UNUSED_PAD src0_sel:DWORD src1_sel:WORD_1
	v_mul_f16_sdwa v20, v1, v15 dst_sel:DWORD dst_unused:UNUSED_PAD src0_sel:DWORD src1_sel:WORD_1
	;; [unrolled: 1-line block ×8, first 2 shown]
	v_fma_f16 v13, v13, v16, -v19
	v_fma_f16 v10, v10, v15, -v20
	;; [unrolled: 1-line block ×4, first 2 shown]
	v_fmac_f16_e32 v23, v2, v16
	v_fmac_f16_e32 v24, v3, v17
	;; [unrolled: 1-line block ×4, first 2 shown]
	v_sub_f16_e32 v1, v13, v10
	v_sub_f16_e32 v2, v11, v14
	v_add_f16_e32 v4, v10, v14
	v_sub_f16_e32 v16, v23, v25
	v_sub_f16_e32 v17, v24, v26
	v_add_f16_e32 v19, v25, v26
	v_add_f16_e32 v27, v13, v11
	;; [unrolled: 1-line block ×3, first 2 shown]
	v_sub_f16_e32 v15, v25, v26
	v_sub_f16_e32 v18, v10, v14
	;; [unrolled: 1-line block ×4, first 2 shown]
	v_add_f16_e32 v10, v12, v10
	v_add_f16_e32 v25, v9, v25
	;; [unrolled: 1-line block ×3, first 2 shown]
	v_fma_f16 v2, -0.5, v4, v12
	v_add_f16_e32 v4, v16, v17
	v_fma_f16 v16, -0.5, v19, v9
	v_fma_f16 v12, -0.5, v27, v12
	;; [unrolled: 1-line block ×3, first 2 shown]
	v_sub_f16_e32 v3, v23, v24
	v_sub_f16_e32 v20, v13, v11
	;; [unrolled: 1-line block ×4, first 2 shown]
	v_add_f16_e32 v10, v10, v13
	v_add_f16_e32 v13, v25, v23
	v_fmamk_f16 v23, v15, 0x3b9c, v12
	v_fmamk_f16 v25, v18, 0xbb9c, v9
	v_add_f16_e32 v17, v21, v22
	v_fmamk_f16 v21, v3, 0x3b9c, v2
	v_fmamk_f16 v22, v20, 0xbb9c, v16
	v_fmac_f16_e32 v2, 0xbb9c, v3
	v_fmac_f16_e32 v16, 0x3b9c, v20
	;; [unrolled: 1-line block ×4, first 2 shown]
	v_add_f16_e32 v19, v28, v29
	v_add_f16_e32 v10, v10, v11
	;; [unrolled: 1-line block ×3, first 2 shown]
	v_fmac_f16_e32 v23, 0x38b4, v3
	v_fmac_f16_e32 v25, 0xb8b4, v20
	;; [unrolled: 1-line block ×8, first 2 shown]
	v_add_f16_e32 v10, v10, v14
	v_add_f16_e32 v11, v11, v26
	v_fmac_f16_e32 v23, 0x34f2, v17
	v_fmac_f16_e32 v25, 0x34f2, v19
	;; [unrolled: 1-line block ×8, first 2 shown]
	v_pack_b32_f16 v1, v11, v10
	v_pack_b32_f16 v3, v25, v23
	v_pack_b32_f16 v2, v16, v2
	v_pack_b32_f16 v4, v22, v21
	v_pack_b32_f16 v9, v9, v12
	ds_write2_b32 v8, v1, v3 offset1:5
	ds_write2_b32 v8, v2, v4 offset0:10 offset1:15
	ds_write_b32 v8, v9 offset:80
.LBB0_13:
	s_or_b32 exec_lo, exec_lo, s11
	v_mul_u32_u24_e32 v1, 3, v6
	s_waitcnt lgkmcnt(0)
	s_barrier
	buffer_gl0_inv
	v_lshlrev_b32_e32 v1, 2, v1
	global_load_dwordx3 v[1:3], v1, s[12:13] offset:80
	ds_read2_b32 v[8:9], v5 offset0:25 offset1:50
	ds_read_b32 v4, v5 offset:300
	ds_read_b32 v6, v7
	s_waitcnt vmcnt(0) lgkmcnt(0)
	s_barrier
	buffer_gl0_inv
	v_lshrrev_b32_e32 v7, 16, v8
	v_lshrrev_b32_e32 v10, 16, v9
	;; [unrolled: 1-line block ×4, first 2 shown]
	v_mul_f16_sdwa v13, v1, v7 dst_sel:DWORD dst_unused:UNUSED_PAD src0_sel:WORD_1 src1_sel:DWORD
	v_mul_f16_sdwa v14, v1, v8 dst_sel:DWORD dst_unused:UNUSED_PAD src0_sel:WORD_1 src1_sel:DWORD
	;; [unrolled: 1-line block ×6, first 2 shown]
	v_fmac_f16_e32 v13, v1, v8
	v_fma_f16 v7, v1, v7, -v14
	v_fmac_f16_e32 v15, v2, v9
	v_fma_f16 v1, v2, v10, -v16
	;; [unrolled: 2-line block ×3, first 2 shown]
	v_sub_f16_e32 v3, v6, v15
	v_sub_f16_e32 v4, v12, v1
	;; [unrolled: 1-line block ×4, first 2 shown]
	v_and_b32_e32 v1, 3, v0
	v_fma_f16 v6, v6, 2.0, -v3
	v_fma_f16 v9, v12, 2.0, -v4
	;; [unrolled: 1-line block ×4, first 2 shown]
	v_add_f16_e32 v2, v3, v2
	v_sub_f16_e32 v8, v4, v8
	v_or_b32_e32 v11, s22, v1
	v_sub_f16_e32 v10, v6, v10
	v_sub_f16_e32 v7, v9, v7
	v_fma_f16 v3, v3, 2.0, -v2
	v_fma_f16 v4, v4, 2.0, -v8
	v_cmp_gt_u32_e32 vcc_lo, s0, v11
	v_fma_f16 v6, v6, 2.0, -v10
	v_fma_f16 v9, v9, 2.0, -v7
	v_pack_b32_f16 v2, v2, v8
	v_pack_b32_f16 v3, v3, v4
	;; [unrolled: 1-line block ×3, first 2 shown]
	s_or_b32 s0, s3, vcc_lo
	v_pack_b32_f16 v6, v6, v9
	ds_write2_b32 v5, v4, v2 offset0:50 offset1:75
	ds_write2_b32 v5, v6, v3 offset1:25
	s_waitcnt lgkmcnt(0)
	s_barrier
	buffer_gl0_inv
	s_and_saveexec_b32 s3, s0
	s_cbranch_execz .LBB0_15
; %bb.14:
	s_load_dwordx2 s[4:5], s[4:5], 0x60
	v_mad_u64_u32 v[2:3], null, s8, v1, 0
	s_mul_i32 s3, s9, s22
	s_mul_hi_u32 s12, s8, s22
	v_and_b32_e32 v5, 0x7c, v0
	s_mul_i32 s0, s8, s22
	s_mul_i32 s7, s7, s1
	s_mul_hi_u32 s8, s6, s1
	v_mad_u64_u32 v[3:4], null, s9, v1, v[3:4]
	v_lshrrev_b32_e32 v4, 2, v0
	v_mul_u32_u24_e32 v1, 0x190, v1
	s_mul_i32 s6, s6, s1
	s_add_i32 s1, s12, s3
	s_mul_i32 s10, s19, s10
	v_mul_lo_u32 v0, v4, s2
	s_lshl_b64 s[0:1], s[0:1], 2
	s_mov_b32 s11, 0
	s_add_i32 s7, s8, s7
	v_add3_u32 v8, 0, v1, v5
	s_waitcnt lgkmcnt(0)
	s_add_u32 s3, s4, s0
	v_mov_b32_e32 v1, 0
	s_addc_u32 s4, s5, s1
	s_lshl_b64 s[0:1], s[10:11], 2
	v_lshlrev_b64 v[2:3], 2, v[2:3]
	s_add_u32 s3, s3, s0
	s_mul_i32 s2, s2, 25
	s_addc_u32 s4, s4, s1
	s_lshl_b64 s[0:1], s[6:7], 2
	v_lshlrev_b64 v[6:7], 2, v[0:1]
	v_add_nc_u32_e32 v0, s2, v0
	s_add_u32 s0, s3, s0
	s_addc_u32 s1, s4, s1
	v_add_co_u32 v12, vcc_lo, s0, v2
	ds_read2_b32 v[4:5], v8 offset1:25
	v_add_co_ci_u32_e32 v13, vcc_lo, s1, v3, vcc_lo
	v_lshlrev_b64 v[2:3], 2, v[0:1]
	v_add_nc_u32_e32 v0, s2, v0
	ds_read2_b32 v[8:9], v8 offset0:50 offset1:75
	v_add_co_u32 v6, vcc_lo, v12, v6
	v_add_co_ci_u32_e32 v7, vcc_lo, v13, v7, vcc_lo
	v_lshlrev_b64 v[10:11], 2, v[0:1]
	v_add_nc_u32_e32 v0, s2, v0
	v_add_co_u32 v2, vcc_lo, v12, v2
	v_add_co_ci_u32_e32 v3, vcc_lo, v13, v3, vcc_lo
	v_lshlrev_b64 v[0:1], 2, v[0:1]
	v_add_co_u32 v10, vcc_lo, v12, v10
	v_add_co_ci_u32_e32 v11, vcc_lo, v13, v11, vcc_lo
	v_add_co_u32 v0, vcc_lo, v12, v0
	v_add_co_ci_u32_e32 v1, vcc_lo, v13, v1, vcc_lo
	s_waitcnt lgkmcnt(1)
	global_store_dword v[6:7], v4, off
	global_store_dword v[2:3], v5, off
	s_waitcnt lgkmcnt(0)
	global_store_dword v[10:11], v8, off
	global_store_dword v[0:1], v9, off
.LBB0_15:
	s_endpgm
	.section	.rodata,"a",@progbits
	.p2align	6, 0x0
	.amdhsa_kernel fft_rtc_back_len100_factors_5_5_4_wgs_100_tpt_25_half_op_CI_CI_sbrc_z_xy_unaligned
		.amdhsa_group_segment_fixed_size 0
		.amdhsa_private_segment_fixed_size 0
		.amdhsa_kernarg_size 104
		.amdhsa_user_sgpr_count 6
		.amdhsa_user_sgpr_private_segment_buffer 1
		.amdhsa_user_sgpr_dispatch_ptr 0
		.amdhsa_user_sgpr_queue_ptr 0
		.amdhsa_user_sgpr_kernarg_segment_ptr 1
		.amdhsa_user_sgpr_dispatch_id 0
		.amdhsa_user_sgpr_flat_scratch_init 0
		.amdhsa_user_sgpr_private_segment_size 0
		.amdhsa_wavefront_size32 1
		.amdhsa_uses_dynamic_stack 0
		.amdhsa_system_sgpr_private_segment_wavefront_offset 0
		.amdhsa_system_sgpr_workgroup_id_x 1
		.amdhsa_system_sgpr_workgroup_id_y 0
		.amdhsa_system_sgpr_workgroup_id_z 0
		.amdhsa_system_sgpr_workgroup_info 0
		.amdhsa_system_vgpr_workitem_id 0
		.amdhsa_next_free_vgpr 31
		.amdhsa_next_free_sgpr 23
		.amdhsa_reserve_vcc 1
		.amdhsa_reserve_flat_scratch 0
		.amdhsa_float_round_mode_32 0
		.amdhsa_float_round_mode_16_64 0
		.amdhsa_float_denorm_mode_32 3
		.amdhsa_float_denorm_mode_16_64 3
		.amdhsa_dx10_clamp 1
		.amdhsa_ieee_mode 1
		.amdhsa_fp16_overflow 0
		.amdhsa_workgroup_processor_mode 1
		.amdhsa_memory_ordered 1
		.amdhsa_forward_progress 0
		.amdhsa_shared_vgpr_count 0
		.amdhsa_exception_fp_ieee_invalid_op 0
		.amdhsa_exception_fp_denorm_src 0
		.amdhsa_exception_fp_ieee_div_zero 0
		.amdhsa_exception_fp_ieee_overflow 0
		.amdhsa_exception_fp_ieee_underflow 0
		.amdhsa_exception_fp_ieee_inexact 0
		.amdhsa_exception_int_div_zero 0
	.end_amdhsa_kernel
	.text
.Lfunc_end0:
	.size	fft_rtc_back_len100_factors_5_5_4_wgs_100_tpt_25_half_op_CI_CI_sbrc_z_xy_unaligned, .Lfunc_end0-fft_rtc_back_len100_factors_5_5_4_wgs_100_tpt_25_half_op_CI_CI_sbrc_z_xy_unaligned
                                        ; -- End function
	.section	.AMDGPU.csdata,"",@progbits
; Kernel info:
; codeLenInByte = 2872
; NumSgprs: 25
; NumVgprs: 31
; ScratchSize: 0
; MemoryBound: 0
; FloatMode: 240
; IeeeMode: 1
; LDSByteSize: 0 bytes/workgroup (compile time only)
; SGPRBlocks: 3
; VGPRBlocks: 3
; NumSGPRsForWavesPerEU: 25
; NumVGPRsForWavesPerEU: 31
; Occupancy: 16
; WaveLimiterHint : 1
; COMPUTE_PGM_RSRC2:SCRATCH_EN: 0
; COMPUTE_PGM_RSRC2:USER_SGPR: 6
; COMPUTE_PGM_RSRC2:TRAP_HANDLER: 0
; COMPUTE_PGM_RSRC2:TGID_X_EN: 1
; COMPUTE_PGM_RSRC2:TGID_Y_EN: 0
; COMPUTE_PGM_RSRC2:TGID_Z_EN: 0
; COMPUTE_PGM_RSRC2:TIDIG_COMP_CNT: 0
	.text
	.p2alignl 6, 3214868480
	.fill 48, 4, 3214868480
	.type	__hip_cuid_84da24adc44644c4,@object ; @__hip_cuid_84da24adc44644c4
	.section	.bss,"aw",@nobits
	.globl	__hip_cuid_84da24adc44644c4
__hip_cuid_84da24adc44644c4:
	.byte	0                               ; 0x0
	.size	__hip_cuid_84da24adc44644c4, 1

	.ident	"AMD clang version 19.0.0git (https://github.com/RadeonOpenCompute/llvm-project roc-6.4.0 25133 c7fe45cf4b819c5991fe208aaa96edf142730f1d)"
	.section	".note.GNU-stack","",@progbits
	.addrsig
	.addrsig_sym __hip_cuid_84da24adc44644c4
	.amdgpu_metadata
---
amdhsa.kernels:
  - .args:
      - .actual_access:  read_only
        .address_space:  global
        .offset:         0
        .size:           8
        .value_kind:     global_buffer
      - .offset:         8
        .size:           8
        .value_kind:     by_value
      - .actual_access:  read_only
        .address_space:  global
        .offset:         16
        .size:           8
        .value_kind:     global_buffer
      - .actual_access:  read_only
        .address_space:  global
        .offset:         24
        .size:           8
        .value_kind:     global_buffer
      - .actual_access:  read_only
        .address_space:  global
        .offset:         32
        .size:           8
        .value_kind:     global_buffer
      - .offset:         40
        .size:           8
        .value_kind:     by_value
      - .actual_access:  read_only
        .address_space:  global
        .offset:         48
        .size:           8
        .value_kind:     global_buffer
      - .actual_access:  read_only
        .address_space:  global
        .offset:         56
        .size:           8
        .value_kind:     global_buffer
      - .offset:         64
        .size:           4
        .value_kind:     by_value
      - .actual_access:  read_only
        .address_space:  global
        .offset:         72
        .size:           8
        .value_kind:     global_buffer
      - .actual_access:  read_only
        .address_space:  global
        .offset:         80
        .size:           8
        .value_kind:     global_buffer
      - .actual_access:  read_only
        .address_space:  global
        .offset:         88
        .size:           8
        .value_kind:     global_buffer
      - .actual_access:  write_only
        .address_space:  global
        .offset:         96
        .size:           8
        .value_kind:     global_buffer
    .group_segment_fixed_size: 0
    .kernarg_segment_align: 8
    .kernarg_segment_size: 104
    .language:       OpenCL C
    .language_version:
      - 2
      - 0
    .max_flat_workgroup_size: 100
    .name:           fft_rtc_back_len100_factors_5_5_4_wgs_100_tpt_25_half_op_CI_CI_sbrc_z_xy_unaligned
    .private_segment_fixed_size: 0
    .sgpr_count:     25
    .sgpr_spill_count: 0
    .symbol:         fft_rtc_back_len100_factors_5_5_4_wgs_100_tpt_25_half_op_CI_CI_sbrc_z_xy_unaligned.kd
    .uniform_work_group_size: 1
    .uses_dynamic_stack: false
    .vgpr_count:     31
    .vgpr_spill_count: 0
    .wavefront_size: 32
    .workgroup_processor_mode: 1
amdhsa.target:   amdgcn-amd-amdhsa--gfx1030
amdhsa.version:
  - 1
  - 2
...

	.end_amdgpu_metadata
